;; amdgpu-corpus repo=ROCm/rocFFT kind=compiled arch=gfx906 opt=O3
	.text
	.amdgcn_target "amdgcn-amd-amdhsa--gfx906"
	.amdhsa_code_object_version 6
	.protected	fft_rtc_back_len560_factors_8_7_5_2_wgs_56_tpt_56_dp_op_CI_CI_unitstride_sbrr_C2R_dirReg ; -- Begin function fft_rtc_back_len560_factors_8_7_5_2_wgs_56_tpt_56_dp_op_CI_CI_unitstride_sbrr_C2R_dirReg
	.globl	fft_rtc_back_len560_factors_8_7_5_2_wgs_56_tpt_56_dp_op_CI_CI_unitstride_sbrr_C2R_dirReg
	.p2align	8
	.type	fft_rtc_back_len560_factors_8_7_5_2_wgs_56_tpt_56_dp_op_CI_CI_unitstride_sbrr_C2R_dirReg,@function
fft_rtc_back_len560_factors_8_7_5_2_wgs_56_tpt_56_dp_op_CI_CI_unitstride_sbrr_C2R_dirReg: ; @fft_rtc_back_len560_factors_8_7_5_2_wgs_56_tpt_56_dp_op_CI_CI_unitstride_sbrr_C2R_dirReg
; %bb.0:
	s_load_dwordx4 s[8:11], s[4:5], 0x58
	s_load_dwordx4 s[12:15], s[4:5], 0x0
	;; [unrolled: 1-line block ×3, first 2 shown]
	v_mul_u32_u24_e32 v1, 0x493, v0
	v_add_u32_sdwa v5, s6, v1 dst_sel:DWORD dst_unused:UNUSED_PAD src0_sel:DWORD src1_sel:WORD_1
	v_mov_b32_e32 v3, 0
	s_waitcnt lgkmcnt(0)
	v_cmp_lt_u64_e64 s[0:1], s[14:15], 2
	v_mov_b32_e32 v1, 0
	v_mov_b32_e32 v6, v3
	s_and_b64 vcc, exec, s[0:1]
	v_mov_b32_e32 v2, 0
	s_cbranch_vccnz .LBB0_8
; %bb.1:
	s_load_dwordx2 s[0:1], s[4:5], 0x10
	s_add_u32 s2, s18, 8
	s_addc_u32 s3, s19, 0
	s_add_u32 s6, s16, 8
	v_mov_b32_e32 v1, 0
	s_addc_u32 s7, s17, 0
	v_mov_b32_e32 v2, 0
	s_waitcnt lgkmcnt(0)
	s_add_u32 s20, s0, 8
	v_mov_b32_e32 v81, v2
	s_addc_u32 s21, s1, 0
	s_mov_b64 s[22:23], 1
	v_mov_b32_e32 v80, v1
.LBB0_2:                                ; =>This Inner Loop Header: Depth=1
	s_load_dwordx2 s[24:25], s[20:21], 0x0
                                        ; implicit-def: $vgpr82_vgpr83
	s_waitcnt lgkmcnt(0)
	v_or_b32_e32 v4, s25, v6
	v_cmp_ne_u64_e32 vcc, 0, v[3:4]
	s_and_saveexec_b64 s[0:1], vcc
	s_xor_b64 s[26:27], exec, s[0:1]
	s_cbranch_execz .LBB0_4
; %bb.3:                                ;   in Loop: Header=BB0_2 Depth=1
	v_cvt_f32_u32_e32 v4, s24
	v_cvt_f32_u32_e32 v7, s25
	s_sub_u32 s0, 0, s24
	s_subb_u32 s1, 0, s25
	v_mac_f32_e32 v4, 0x4f800000, v7
	v_rcp_f32_e32 v4, v4
	v_mul_f32_e32 v4, 0x5f7ffffc, v4
	v_mul_f32_e32 v7, 0x2f800000, v4
	v_trunc_f32_e32 v7, v7
	v_mac_f32_e32 v4, 0xcf800000, v7
	v_cvt_u32_f32_e32 v7, v7
	v_cvt_u32_f32_e32 v4, v4
	v_mul_lo_u32 v8, s0, v7
	v_mul_hi_u32 v9, s0, v4
	v_mul_lo_u32 v11, s1, v4
	v_mul_lo_u32 v10, s0, v4
	v_add_u32_e32 v8, v9, v8
	v_add_u32_e32 v8, v8, v11
	v_mul_hi_u32 v9, v4, v10
	v_mul_lo_u32 v11, v4, v8
	v_mul_hi_u32 v13, v4, v8
	v_mul_hi_u32 v12, v7, v10
	v_mul_lo_u32 v10, v7, v10
	v_mul_hi_u32 v14, v7, v8
	v_add_co_u32_e32 v9, vcc, v9, v11
	v_addc_co_u32_e32 v11, vcc, 0, v13, vcc
	v_mul_lo_u32 v8, v7, v8
	v_add_co_u32_e32 v9, vcc, v9, v10
	v_addc_co_u32_e32 v9, vcc, v11, v12, vcc
	v_addc_co_u32_e32 v10, vcc, 0, v14, vcc
	v_add_co_u32_e32 v8, vcc, v9, v8
	v_addc_co_u32_e32 v9, vcc, 0, v10, vcc
	v_add_co_u32_e32 v4, vcc, v4, v8
	v_addc_co_u32_e32 v7, vcc, v7, v9, vcc
	v_mul_lo_u32 v8, s0, v7
	v_mul_hi_u32 v9, s0, v4
	v_mul_lo_u32 v10, s1, v4
	v_mul_lo_u32 v11, s0, v4
	v_add_u32_e32 v8, v9, v8
	v_add_u32_e32 v8, v8, v10
	v_mul_lo_u32 v12, v4, v8
	v_mul_hi_u32 v13, v4, v11
	v_mul_hi_u32 v14, v4, v8
	v_mul_hi_u32 v10, v7, v11
	v_mul_lo_u32 v11, v7, v11
	v_mul_hi_u32 v9, v7, v8
	v_add_co_u32_e32 v12, vcc, v13, v12
	v_addc_co_u32_e32 v13, vcc, 0, v14, vcc
	v_mul_lo_u32 v8, v7, v8
	v_add_co_u32_e32 v11, vcc, v12, v11
	v_addc_co_u32_e32 v10, vcc, v13, v10, vcc
	v_addc_co_u32_e32 v9, vcc, 0, v9, vcc
	v_add_co_u32_e32 v8, vcc, v10, v8
	v_addc_co_u32_e32 v9, vcc, 0, v9, vcc
	v_add_co_u32_e32 v4, vcc, v4, v8
	v_addc_co_u32_e32 v9, vcc, v7, v9, vcc
	v_mad_u64_u32 v[7:8], s[0:1], v5, v9, 0
	v_mul_hi_u32 v10, v5, v4
	v_add_co_u32_e32 v11, vcc, v10, v7
	v_addc_co_u32_e32 v12, vcc, 0, v8, vcc
	v_mad_u64_u32 v[7:8], s[0:1], v6, v4, 0
	v_mad_u64_u32 v[9:10], s[0:1], v6, v9, 0
	v_add_co_u32_e32 v4, vcc, v11, v7
	v_addc_co_u32_e32 v4, vcc, v12, v8, vcc
	v_addc_co_u32_e32 v7, vcc, 0, v10, vcc
	v_add_co_u32_e32 v4, vcc, v4, v9
	v_addc_co_u32_e32 v9, vcc, 0, v7, vcc
	v_mul_lo_u32 v10, s25, v4
	v_mul_lo_u32 v11, s24, v9
	v_mad_u64_u32 v[7:8], s[0:1], s24, v4, 0
	v_add3_u32 v8, v8, v11, v10
	v_sub_u32_e32 v10, v6, v8
	v_mov_b32_e32 v11, s25
	v_sub_co_u32_e32 v7, vcc, v5, v7
	v_subb_co_u32_e64 v10, s[0:1], v10, v11, vcc
	v_subrev_co_u32_e64 v11, s[0:1], s24, v7
	v_subbrev_co_u32_e64 v10, s[0:1], 0, v10, s[0:1]
	v_cmp_le_u32_e64 s[0:1], s25, v10
	v_cndmask_b32_e64 v12, 0, -1, s[0:1]
	v_cmp_le_u32_e64 s[0:1], s24, v11
	v_cndmask_b32_e64 v11, 0, -1, s[0:1]
	v_cmp_eq_u32_e64 s[0:1], s25, v10
	v_cndmask_b32_e64 v10, v12, v11, s[0:1]
	v_add_co_u32_e64 v11, s[0:1], 2, v4
	v_addc_co_u32_e64 v12, s[0:1], 0, v9, s[0:1]
	v_add_co_u32_e64 v13, s[0:1], 1, v4
	v_addc_co_u32_e64 v14, s[0:1], 0, v9, s[0:1]
	v_subb_co_u32_e32 v8, vcc, v6, v8, vcc
	v_cmp_ne_u32_e64 s[0:1], 0, v10
	v_cmp_le_u32_e32 vcc, s25, v8
	v_cndmask_b32_e64 v10, v14, v12, s[0:1]
	v_cndmask_b32_e64 v12, 0, -1, vcc
	v_cmp_le_u32_e32 vcc, s24, v7
	v_cndmask_b32_e64 v7, 0, -1, vcc
	v_cmp_eq_u32_e32 vcc, s25, v8
	v_cndmask_b32_e32 v7, v12, v7, vcc
	v_cmp_ne_u32_e32 vcc, 0, v7
	v_cndmask_b32_e64 v7, v13, v11, s[0:1]
	v_cndmask_b32_e32 v83, v9, v10, vcc
	v_cndmask_b32_e32 v82, v4, v7, vcc
.LBB0_4:                                ;   in Loop: Header=BB0_2 Depth=1
	s_andn2_saveexec_b64 s[0:1], s[26:27]
	s_cbranch_execz .LBB0_6
; %bb.5:                                ;   in Loop: Header=BB0_2 Depth=1
	v_cvt_f32_u32_e32 v4, s24
	s_sub_i32 s26, 0, s24
	v_mov_b32_e32 v83, v3
	v_rcp_iflag_f32_e32 v4, v4
	v_mul_f32_e32 v4, 0x4f7ffffe, v4
	v_cvt_u32_f32_e32 v4, v4
	v_mul_lo_u32 v7, s26, v4
	v_mul_hi_u32 v7, v4, v7
	v_add_u32_e32 v4, v4, v7
	v_mul_hi_u32 v4, v5, v4
	v_mul_lo_u32 v7, v4, s24
	v_add_u32_e32 v8, 1, v4
	v_sub_u32_e32 v7, v5, v7
	v_subrev_u32_e32 v9, s24, v7
	v_cmp_le_u32_e32 vcc, s24, v7
	v_cndmask_b32_e32 v7, v7, v9, vcc
	v_cndmask_b32_e32 v4, v4, v8, vcc
	v_add_u32_e32 v8, 1, v4
	v_cmp_le_u32_e32 vcc, s24, v7
	v_cndmask_b32_e32 v82, v4, v8, vcc
.LBB0_6:                                ;   in Loop: Header=BB0_2 Depth=1
	s_or_b64 exec, exec, s[0:1]
	v_mul_lo_u32 v4, v83, s24
	v_mul_lo_u32 v9, v82, s25
	v_mad_u64_u32 v[7:8], s[0:1], v82, s24, 0
	s_load_dwordx2 s[0:1], s[6:7], 0x0
	s_load_dwordx2 s[24:25], s[2:3], 0x0
	v_add3_u32 v4, v8, v9, v4
	v_sub_co_u32_e32 v5, vcc, v5, v7
	v_subb_co_u32_e32 v4, vcc, v6, v4, vcc
	s_waitcnt lgkmcnt(0)
	v_mul_lo_u32 v6, s0, v4
	v_mul_lo_u32 v7, s1, v5
	v_mad_u64_u32 v[1:2], s[0:1], s0, v5, v[1:2]
	v_mul_lo_u32 v4, s24, v4
	v_mul_lo_u32 v8, s25, v5
	v_mad_u64_u32 v[80:81], s[0:1], s24, v5, v[80:81]
	s_add_u32 s22, s22, 1
	s_addc_u32 s23, s23, 0
	s_add_u32 s2, s2, 8
	v_add3_u32 v81, v8, v81, v4
	s_addc_u32 s3, s3, 0
	v_mov_b32_e32 v4, s14
	s_add_u32 s6, s6, 8
	v_mov_b32_e32 v5, s15
	s_addc_u32 s7, s7, 0
	v_cmp_ge_u64_e32 vcc, s[22:23], v[4:5]
	s_add_u32 s20, s20, 8
	v_add3_u32 v2, v7, v2, v6
	s_addc_u32 s21, s21, 0
	s_cbranch_vccnz .LBB0_9
; %bb.7:                                ;   in Loop: Header=BB0_2 Depth=1
	v_mov_b32_e32 v5, v82
	v_mov_b32_e32 v6, v83
	s_branch .LBB0_2
.LBB0_8:
	v_mov_b32_e32 v81, v2
	v_mov_b32_e32 v83, v6
	;; [unrolled: 1-line block ×4, first 2 shown]
.LBB0_9:
	s_load_dwordx2 s[4:5], s[4:5], 0x28
	s_lshl_b64 s[6:7], s[14:15], 3
	s_add_u32 s2, s18, s6
	s_addc_u32 s3, s19, s7
                                        ; implicit-def: $vgpr84
                                        ; implicit-def: $vgpr4_vgpr5
	s_waitcnt lgkmcnt(0)
	v_cmp_gt_u64_e64 s[0:1], s[4:5], v[82:83]
	v_cmp_le_u64_e32 vcc, s[4:5], v[82:83]
	s_and_saveexec_b64 s[4:5], vcc
	s_xor_b64 s[4:5], exec, s[4:5]
; %bb.10:
	s_mov_b32 s14, 0x4924925
	v_mul_hi_u32 v1, v0, s14
	v_mov_b32_e32 v85, 0
	v_mul_u32_u24_e32 v1, 56, v1
	v_sub_u32_e32 v84, v0, v1
	v_mov_b32_e32 v4, v84
	v_mov_b32_e32 v5, v85
                                        ; implicit-def: $vgpr0
                                        ; implicit-def: $vgpr1_vgpr2
; %bb.11:
	s_or_saveexec_b64 s[4:5], s[4:5]
	s_load_dwordx2 s[2:3], s[2:3], 0x0
	s_xor_b64 exec, exec, s[4:5]
	s_cbranch_execz .LBB0_15
; %bb.12:
	s_add_u32 s6, s16, s6
	s_addc_u32 s7, s17, s7
	s_load_dwordx2 s[6:7], s[6:7], 0x0
	s_mov_b32 s14, 0x4924925
	v_mul_hi_u32 v5, v0, s14
	v_lshlrev_b64 v[1:2], 4, v[1:2]
	v_mov_b32_e32 v85, 0
	s_waitcnt lgkmcnt(0)
	v_mul_lo_u32 v6, s7, v82
	v_mul_lo_u32 v7, s6, v83
	v_mad_u64_u32 v[3:4], s[6:7], s6, v82, 0
	v_mul_u32_u24_e32 v5, 56, v5
	v_sub_u32_e32 v84, v0, v5
	v_add3_u32 v4, v4, v7, v6
	v_lshlrev_b64 v[3:4], 4, v[3:4]
	v_mov_b32_e32 v0, s9
	v_add_co_u32_e32 v3, vcc, s8, v3
	v_addc_co_u32_e32 v0, vcc, v0, v4, vcc
	v_add_co_u32_e32 v1, vcc, v3, v1
	v_addc_co_u32_e32 v0, vcc, v0, v2, vcc
	v_lshlrev_b32_e32 v48, 4, v84
	v_add_co_u32_e32 v42, vcc, v1, v48
	v_addc_co_u32_e32 v43, vcc, 0, v0, vcc
	s_movk_i32 s6, 0x1000
	v_add_co_u32_e32 v44, vcc, s6, v42
	v_or_b32_e32 v18, 0x1c00, v48
	v_addc_co_u32_e32 v45, vcc, 0, v43, vcc
	v_add_co_u32_e32 v46, vcc, v1, v18
	global_load_dwordx4 v[2:5], v[42:43], off
	global_load_dwordx4 v[6:9], v[42:43], off offset:896
	global_load_dwordx4 v[10:13], v[42:43], off offset:1792
	global_load_dwordx4 v[14:17], v[42:43], off offset:2688
	v_addc_co_u32_e32 v47, vcc, 0, v0, vcc
	global_load_dwordx4 v[18:21], v[42:43], off offset:3584
	global_load_dwordx4 v[22:25], v[46:47], off
	global_load_dwordx4 v[26:29], v[44:45], off offset:384
	global_load_dwordx4 v[30:33], v[44:45], off offset:1280
	;; [unrolled: 1-line block ×4, first 2 shown]
	v_add_u32_e32 v42, 0, v48
	v_cmp_eq_u32_e32 vcc, 55, v84
	s_waitcnt vmcnt(9)
	ds_write_b128 v42, v[2:5]
	s_waitcnt vmcnt(8)
	ds_write_b128 v42, v[6:9] offset:896
	s_waitcnt vmcnt(7)
	ds_write_b128 v42, v[10:13] offset:1792
	s_waitcnt vmcnt(6)
	ds_write_b128 v42, v[14:17] offset:2688
	s_waitcnt vmcnt(5)
	ds_write_b128 v42, v[18:21] offset:3584
	s_waitcnt vmcnt(4)
	ds_write_b128 v42, v[22:25] offset:7168
	s_waitcnt vmcnt(3)
	ds_write_b128 v42, v[26:29] offset:4480
	s_waitcnt vmcnt(2)
	ds_write_b128 v42, v[30:33] offset:5376
	s_waitcnt vmcnt(1)
	ds_write_b128 v42, v[34:37] offset:6272
	s_waitcnt vmcnt(0)
	ds_write_b128 v42, v[38:41] offset:8064
	v_mov_b32_e32 v4, v84
	v_mov_b32_e32 v5, v85
	s_and_saveexec_b64 s[6:7], vcc
	s_cbranch_execz .LBB0_14
; %bb.13:
	v_add_co_u32_e32 v1, vcc, 0x2000, v1
	v_addc_co_u32_e32 v2, vcc, 0, v0, vcc
	global_load_dwordx4 v[0:3], v[1:2], off offset:768
	v_mov_b32_e32 v4, 55
	v_mov_b32_e32 v5, 0
	;; [unrolled: 1-line block ×3, first 2 shown]
	s_waitcnt vmcnt(0)
	ds_write_b128 v85, v[0:3] offset:8960
.LBB0_14:
	s_or_b64 exec, exec, s[6:7]
.LBB0_15:
	s_or_b64 exec, exec, s[4:5]
	v_lshlrev_b32_e32 v0, 4, v84
	v_add_u32_e32 v90, 0, v0
	s_waitcnt lgkmcnt(0)
	; wave barrier
	s_waitcnt lgkmcnt(0)
	v_sub_u32_e32 v6, 0, v0
	ds_read_b64 v[2:3], v90
	ds_read_b64 v[7:8], v6 offset:8960
	s_add_u32 s6, s12, 0x2280
	v_lshlrev_b64 v[86:87], 4, v[4:5]
	s_addc_u32 s7, s13, 0
	v_cmp_ne_u32_e32 vcc, 0, v84
	s_waitcnt lgkmcnt(0)
	v_add_f64 v[0:1], v[2:3], v[7:8]
	v_add_f64 v[2:3], v[2:3], -v[7:8]
	s_and_saveexec_b64 s[4:5], vcc
	s_xor_b64 s[4:5], exec, s[4:5]
	s_cbranch_execz .LBB0_17
; %bb.16:
	v_mov_b32_e32 v5, s7
	v_add_co_u32_e32 v4, vcc, s6, v86
	v_addc_co_u32_e32 v5, vcc, v5, v87, vcc
	global_load_dwordx4 v[7:10], v[4:5], off
	ds_read_b64 v[4:5], v6 offset:8968
	ds_read_b64 v[11:12], v90 offset:8
	s_waitcnt lgkmcnt(0)
	v_add_f64 v[13:14], v[4:5], v[11:12]
	v_add_f64 v[4:5], v[11:12], -v[4:5]
	s_waitcnt vmcnt(0)
	v_fma_f64 v[11:12], v[2:3], v[9:10], v[0:1]
	v_fma_f64 v[15:16], v[13:14], v[9:10], v[4:5]
	v_fma_f64 v[4:5], v[13:14], v[9:10], -v[4:5]
	v_fma_f64 v[0:1], -v[2:3], v[9:10], v[0:1]
	v_fma_f64 v[9:10], -v[13:14], v[7:8], v[11:12]
	v_fma_f64 v[11:12], v[2:3], v[7:8], v[15:16]
	v_fma_f64 v[2:3], v[2:3], v[7:8], v[4:5]
	;; [unrolled: 1-line block ×3, first 2 shown]
	ds_write_b128 v90, v[9:12]
	ds_write_b128 v6, v[0:3] offset:8960
                                        ; implicit-def: $vgpr0_vgpr1
.LBB0_17:
	s_andn2_saveexec_b64 s[4:5], s[4:5]
	s_cbranch_execz .LBB0_19
; %bb.18:
	ds_write_b128 v90, v[0:3]
	v_mov_b32_e32 v4, 0
	ds_read_b128 v[0:3], v4 offset:4480
	s_waitcnt lgkmcnt(0)
	v_add_f64 v[0:1], v[0:1], v[0:1]
	v_mul_f64 v[2:3], v[2:3], -2.0
	ds_write_b128 v4, v[0:3] offset:4480
.LBB0_19:
	s_or_b64 exec, exec, s[4:5]
	v_mov_b32_e32 v85, 0
	v_lshlrev_b64 v[88:89], 4, v[84:85]
	v_mov_b32_e32 v0, s7
	v_add_co_u32_e32 v23, vcc, s6, v88
	v_addc_co_u32_e32 v24, vcc, v0, v89, vcc
	global_load_dwordx4 v[0:3], v[23:24], off offset:896
	global_load_dwordx4 v[7:10], v[23:24], off offset:1792
	ds_read_b128 v[11:14], v90 offset:896
	ds_read_b128 v[15:18], v6 offset:8064
	global_load_dwordx4 v[19:22], v[23:24], off offset:2688
	s_mov_b32 s4, 0x667f3bcd
	s_mov_b32 s5, 0xbfe6a09e
	s_mov_b32 s7, 0x3fe6a09e
	s_waitcnt lgkmcnt(0)
	v_add_f64 v[4:5], v[11:12], v[15:16]
	v_add_f64 v[25:26], v[17:18], v[13:14]
	v_add_f64 v[15:16], v[11:12], -v[15:16]
	v_add_f64 v[11:12], v[13:14], -v[17:18]
	s_mov_b32 s6, s4
	s_movk_i32 s8, 0x70
	v_mad_u32_u24 v85, v84, s8, v90
	v_cmp_gt_u32_e32 vcc, 14, v84
	s_waitcnt vmcnt(2)
	v_fma_f64 v[13:14], v[15:16], v[2:3], v[4:5]
	v_fma_f64 v[17:18], v[25:26], v[2:3], v[11:12]
	v_fma_f64 v[27:28], -v[15:16], v[2:3], v[4:5]
	v_fma_f64 v[29:30], v[25:26], v[2:3], -v[11:12]
	v_fma_f64 v[2:3], -v[25:26], v[0:1], v[13:14]
	v_fma_f64 v[4:5], v[15:16], v[0:1], v[17:18]
	v_fma_f64 v[11:12], v[25:26], v[0:1], v[27:28]
	v_fma_f64 v[13:14], v[15:16], v[0:1], v[29:30]
	ds_write_b128 v90, v[2:5] offset:896
	ds_write_b128 v6, v[11:14] offset:8064
	ds_read_b128 v[0:3], v90 offset:1792
	ds_read_b128 v[11:14], v6 offset:7168
	global_load_dwordx4 v[15:18], v[23:24], off offset:3584
	s_waitcnt lgkmcnt(0)
	v_add_f64 v[4:5], v[0:1], v[11:12]
	v_add_f64 v[23:24], v[13:14], v[2:3]
	v_add_f64 v[11:12], v[0:1], -v[11:12]
	v_add_f64 v[0:1], v[2:3], -v[13:14]
	s_waitcnt vmcnt(2)
	v_fma_f64 v[2:3], v[11:12], v[9:10], v[4:5]
	v_fma_f64 v[13:14], v[23:24], v[9:10], v[0:1]
	v_fma_f64 v[4:5], -v[11:12], v[9:10], v[4:5]
	v_fma_f64 v[25:26], v[23:24], v[9:10], -v[0:1]
	v_fma_f64 v[0:1], -v[23:24], v[7:8], v[2:3]
	v_fma_f64 v[2:3], v[11:12], v[7:8], v[13:14]
	v_fma_f64 v[9:10], v[23:24], v[7:8], v[4:5]
	;; [unrolled: 1-line block ×3, first 2 shown]
	ds_write_b128 v90, v[0:3] offset:1792
	ds_write_b128 v6, v[9:12] offset:7168
	ds_read_b128 v[0:3], v90 offset:2688
	ds_read_b128 v[7:10], v6 offset:6272
	s_waitcnt lgkmcnt(0)
	v_add_f64 v[4:5], v[0:1], v[7:8]
	v_add_f64 v[11:12], v[9:10], v[2:3]
	v_add_f64 v[13:14], v[0:1], -v[7:8]
	v_add_f64 v[0:1], v[2:3], -v[9:10]
	s_waitcnt vmcnt(1)
	v_fma_f64 v[2:3], v[13:14], v[21:22], v[4:5]
	v_fma_f64 v[7:8], v[11:12], v[21:22], v[0:1]
	v_fma_f64 v[4:5], -v[13:14], v[21:22], v[4:5]
	v_fma_f64 v[9:10], v[11:12], v[21:22], -v[0:1]
	v_fma_f64 v[0:1], -v[11:12], v[19:20], v[2:3]
	v_fma_f64 v[2:3], v[13:14], v[19:20], v[7:8]
	v_fma_f64 v[7:8], v[11:12], v[19:20], v[4:5]
	;; [unrolled: 1-line block ×3, first 2 shown]
	ds_write_b128 v90, v[0:3] offset:2688
	ds_write_b128 v6, v[7:10] offset:6272
	ds_read_b128 v[0:3], v90 offset:3584
	ds_read_b128 v[7:10], v6 offset:5376
	s_waitcnt lgkmcnt(0)
	v_add_f64 v[4:5], v[0:1], v[7:8]
	v_add_f64 v[11:12], v[9:10], v[2:3]
	v_add_f64 v[13:14], v[0:1], -v[7:8]
	v_add_f64 v[0:1], v[2:3], -v[9:10]
	s_waitcnt vmcnt(0)
	v_fma_f64 v[2:3], v[13:14], v[17:18], v[4:5]
	v_fma_f64 v[7:8], v[11:12], v[17:18], v[0:1]
	v_fma_f64 v[4:5], -v[13:14], v[17:18], v[4:5]
	v_fma_f64 v[9:10], v[11:12], v[17:18], -v[0:1]
	v_fma_f64 v[0:1], -v[11:12], v[15:16], v[2:3]
	v_fma_f64 v[2:3], v[13:14], v[15:16], v[7:8]
	v_fma_f64 v[7:8], v[11:12], v[15:16], v[4:5]
	;; [unrolled: 1-line block ×3, first 2 shown]
	ds_write_b128 v90, v[0:3] offset:3584
	ds_write_b128 v6, v[7:10] offset:5376
	s_waitcnt lgkmcnt(0)
	; wave barrier
	s_waitcnt lgkmcnt(0)
	s_waitcnt lgkmcnt(0)
	; wave barrier
	s_waitcnt lgkmcnt(0)
	ds_read_b128 v[0:3], v90
	ds_read_b128 v[4:7], v90 offset:896
	ds_read_b128 v[8:11], v90 offset:4480
	;; [unrolled: 1-line block ×15, first 2 shown]
	s_waitcnt lgkmcnt(13)
	v_add_f64 v[8:9], v[0:1], -v[8:9]
	v_add_f64 v[10:11], v[2:3], -v[10:11]
	s_waitcnt lgkmcnt(9)
	v_add_f64 v[24:25], v[16:17], -v[24:25]
	v_add_f64 v[26:27], v[18:19], -v[26:27]
	;; [unrolled: 3-line block ×4, first 2 shown]
	v_add_f64 v[12:13], v[4:5], -v[12:13]
	v_add_f64 v[14:15], v[6:7], -v[14:15]
	;; [unrolled: 1-line block ×6, first 2 shown]
	s_waitcnt lgkmcnt(0)
	v_add_f64 v[60:61], v[52:53], -v[60:61]
	v_add_f64 v[62:63], v[54:55], -v[62:63]
	v_fma_f64 v[64:65], v[0:1], 2.0, -v[8:9]
	v_fma_f64 v[66:67], v[2:3], 2.0, -v[10:11]
	;; [unrolled: 1-line block ×8, first 2 shown]
	v_add_f64 v[24:25], v[10:11], -v[24:25]
	v_add_f64 v[48:49], v[40:41], v[58:59]
	v_add_f64 v[50:51], v[42:43], -v[56:57]
	v_add_f64 v[26:27], v[8:9], v[26:27]
	v_fma_f64 v[56:57], v[4:5], 2.0, -v[12:13]
	v_fma_f64 v[58:59], v[6:7], 2.0, -v[14:15]
	;; [unrolled: 1-line block ×8, first 2 shown]
	v_add_f64 v[52:53], v[14:15], -v[28:29]
	v_add_f64 v[28:29], v[44:45], v[62:63]
	v_add_f64 v[54:55], v[46:47], -v[60:61]
	v_add_f64 v[60:61], v[12:13], v[30:31]
	v_fma_f64 v[30:31], v[50:51], s[6:7], v[24:25]
	v_fma_f64 v[62:63], v[48:49], s[6:7], v[26:27]
	v_fma_f64 v[68:69], v[8:9], 2.0, -v[26:27]
	v_fma_f64 v[70:71], v[10:11], 2.0, -v[24:25]
	;; [unrolled: 1-line block ×4, first 2 shown]
	v_fma_f64 v[10:11], v[54:55], s[6:7], v[52:53]
	v_fma_f64 v[44:45], v[28:29], s[6:7], v[60:61]
	v_fma_f64 v[46:47], v[46:47], 2.0, -v[54:55]
	v_fma_f64 v[12:13], v[12:13], 2.0, -v[60:61]
	v_add_f64 v[72:73], v[64:65], -v[0:1]
	v_add_f64 v[74:75], v[66:67], -v[2:3]
	;; [unrolled: 1-line block ×6, first 2 shown]
	v_fma_f64 v[40:41], v[40:41], 2.0, -v[48:49]
	v_fma_f64 v[42:43], v[42:43], 2.0, -v[50:51]
	v_add_f64 v[34:35], v[18:19], -v[34:35]
	v_add_f64 v[32:33], v[16:17], -v[32:33]
	v_fma_f64 v[2:3], v[48:49], s[4:5], v[30:31]
	v_fma_f64 v[0:1], v[50:51], s[6:7], v[62:63]
	;; [unrolled: 1-line block ×6, first 2 shown]
	v_fma_f64 v[54:55], v[64:65], 2.0, -v[72:73]
	v_fma_f64 v[62:63], v[66:67], 2.0, -v[74:75]
	;; [unrolled: 1-line block ×6, first 2 shown]
	v_fma_f64 v[48:49], v[40:41], s[4:5], v[68:69]
	v_fma_f64 v[50:51], v[42:43], s[4:5], v[70:71]
	v_fma_f64 v[16:17], v[16:17], 2.0, -v[32:33]
	v_fma_f64 v[18:19], v[18:19], 2.0, -v[34:35]
	v_add_f64 v[4:5], v[72:73], v[34:35]
	v_add_f64 v[6:7], v[74:75], -v[32:33]
	v_add_f64 v[32:33], v[76:77], v[38:39]
	v_add_f64 v[34:35], v[78:79], -v[36:37]
	v_fma_f64 v[20:21], v[46:47], s[6:7], v[10:11]
	v_fma_f64 v[22:23], v[8:9], s[4:5], v[44:45]
	v_fma_f64 v[44:45], v[26:27], 2.0, -v[0:1]
	v_fma_f64 v[46:47], v[24:25], 2.0, -v[2:3]
	v_add_f64 v[24:25], v[91:92], -v[64:65]
	v_add_f64 v[26:27], v[93:94], -v[66:67]
	v_fma_f64 v[36:37], v[42:43], s[6:7], v[48:49]
	v_fma_f64 v[38:39], v[40:41], s[4:5], v[50:51]
	v_add_f64 v[48:49], v[54:55], -v[16:17]
	v_add_f64 v[50:51], v[62:63], -v[18:19]
	v_fma_f64 v[40:41], v[72:73], 2.0, -v[4:5]
	v_fma_f64 v[42:43], v[74:75], 2.0, -v[6:7]
	s_waitcnt lgkmcnt(0)
	; wave barrier
	ds_write_b128 v85, v[4:7] offset:96
	v_fma_f64 v[8:9], v[76:77], 2.0, -v[32:33]
	v_fma_f64 v[10:11], v[78:79], 2.0, -v[34:35]
	;; [unrolled: 1-line block ×12, first 2 shown]
	ds_write_b128 v85, v[0:3] offset:112
	ds_write_b128 v85, v[40:43] offset:32
	;; [unrolled: 1-line block ×5, first 2 shown]
	ds_write_b128 v85, v[52:55]
	ds_write_b128 v85, v[56:59] offset:16
	v_add_u32_e32 v85, 56, v84
	s_and_saveexec_b64 s[4:5], vcc
	s_cbranch_execz .LBB0_21
; %bb.20:
	v_lshl_add_u32 v36, v85, 7, 0
	ds_write_b128 v36, v[4:7]
	ds_write_b128 v36, v[12:15] offset:16
	ds_write_b128 v36, v[8:11] offset:32
	;; [unrolled: 1-line block ×7, first 2 shown]
.LBB0_21:
	s_or_b64 exec, exec, s[4:5]
	s_waitcnt lgkmcnt(0)
	; wave barrier
	s_waitcnt lgkmcnt(0)
	ds_read_b128 v[28:31], v90
	ds_read_b128 v[48:51], v90 offset:1280
	ds_read_b128 v[44:47], v90 offset:2560
	;; [unrolled: 1-line block ×6, first 2 shown]
	v_cmp_gt_u32_e32 vcc, 24, v84
	s_and_saveexec_b64 s[4:5], vcc
	s_cbranch_execz .LBB0_23
; %bb.22:
	ds_read_b128 v[0:3], v90 offset:896
	ds_read_b128 v[4:7], v90 offset:2176
	;; [unrolled: 1-line block ×7, first 2 shown]
.LBB0_23:
	s_or_b64 exec, exec, s[4:5]
	v_and_b32_e32 v91, 7, v84
	v_mul_u32_u24_e32 v56, 6, v91
	v_lshlrev_b32_e32 v92, 4, v56
	global_load_dwordx4 v[60:63], v92, s[12:13]
	global_load_dwordx4 v[64:67], v92, s[12:13] offset:16
	global_load_dwordx4 v[56:59], v92, s[12:13] offset:32
	;; [unrolled: 1-line block ×5, first 2 shown]
	v_lshrrev_b32_e32 v92, 3, v84
	v_mul_u32_u24_e32 v92, 56, v92
	v_or_b32_e32 v116, v92, v91
	s_mov_b32 s14, 0x37e14327
	s_mov_b32 s6, 0x36b3c0b5
	;; [unrolled: 1-line block ×20, first 2 shown]
	s_waitcnt lgkmcnt(0)
	; wave barrier
	s_waitcnt vmcnt(5) lgkmcnt(0)
	v_mul_f64 v[92:93], v[50:51], v[62:63]
	v_mul_f64 v[94:95], v[48:49], v[62:63]
	s_waitcnt vmcnt(4)
	v_mul_f64 v[96:97], v[46:47], v[66:67]
	v_mul_f64 v[98:99], v[44:45], v[66:67]
	s_waitcnt vmcnt(2)
	;; [unrolled: 3-line block ×3, first 2 shown]
	v_mul_f64 v[108:109], v[42:43], v[78:79]
	v_mul_f64 v[110:111], v[40:41], v[78:79]
	;; [unrolled: 1-line block ×4, first 2 shown]
	s_waitcnt vmcnt(0)
	v_mul_f64 v[112:113], v[34:35], v[74:75]
	v_mul_f64 v[114:115], v[32:33], v[74:75]
	v_fma_f64 v[48:49], v[48:49], v[60:61], v[92:93]
	v_fma_f64 v[50:51], v[50:51], v[60:61], -v[94:95]
	v_fma_f64 v[44:45], v[44:45], v[64:65], v[96:97]
	v_fma_f64 v[46:47], v[46:47], v[64:65], -v[98:99]
	;; [unrolled: 2-line block ×6, first 2 shown]
	v_add_f64 v[92:93], v[48:49], v[52:53]
	v_add_f64 v[94:95], v[50:51], v[54:55]
	v_add_f64 v[48:49], v[48:49], -v[52:53]
	v_add_f64 v[50:51], v[50:51], -v[54:55]
	v_add_f64 v[52:53], v[44:45], v[40:41]
	v_add_f64 v[54:55], v[46:47], v[42:43]
	v_add_f64 v[40:41], v[44:45], -v[40:41]
	v_add_f64 v[42:43], v[46:47], -v[42:43]
	v_add_f64 v[44:45], v[36:37], v[32:33]
	v_add_f64 v[46:47], v[38:39], v[34:35]
	v_add_f64 v[32:33], v[32:33], -v[36:37]
	v_add_f64 v[34:35], v[34:35], -v[38:39]
	v_add_f64 v[36:37], v[52:53], v[92:93]
	v_add_f64 v[38:39], v[54:55], v[94:95]
	v_add_f64 v[96:97], v[52:53], -v[92:93]
	v_add_f64 v[98:99], v[54:55], -v[94:95]
	v_add_f64 v[92:93], v[92:93], -v[44:45]
	v_add_f64 v[94:95], v[94:95], -v[46:47]
	;; [unrolled: 1-line block ×4, first 2 shown]
	v_add_f64 v[100:101], v[32:33], v[40:41]
	v_add_f64 v[102:103], v[34:35], v[42:43]
	v_add_f64 v[104:105], v[32:33], -v[40:41]
	v_add_f64 v[106:107], v[34:35], -v[42:43]
	v_add_f64 v[36:37], v[44:45], v[36:37]
	v_add_f64 v[38:39], v[46:47], v[38:39]
	v_add_f64 v[40:41], v[40:41], -v[48:49]
	v_add_f64 v[42:43], v[42:43], -v[50:51]
	;; [unrolled: 1-line block ×4, first 2 shown]
	v_add_f64 v[44:45], v[100:101], v[48:49]
	v_add_f64 v[46:47], v[102:103], v[50:51]
	v_mul_f64 v[48:49], v[92:93], s[14:15]
	v_mul_f64 v[50:51], v[94:95], s[14:15]
	;; [unrolled: 1-line block ×6, first 2 shown]
	v_add_f64 v[28:29], v[28:29], v[36:37]
	v_add_f64 v[30:31], v[30:31], v[38:39]
	v_mul_f64 v[104:105], v[40:41], s[4:5]
	v_mul_f64 v[106:107], v[42:43], s[4:5]
	v_fma_f64 v[52:53], v[52:53], s[6:7], v[48:49]
	v_fma_f64 v[54:55], v[54:55], s[6:7], v[50:51]
	v_fma_f64 v[92:93], v[96:97], s[8:9], -v[92:93]
	v_fma_f64 v[94:95], v[98:99], s[8:9], -v[94:95]
	v_fma_f64 v[48:49], v[96:97], s[18:19], -v[48:49]
	v_fma_f64 v[50:51], v[98:99], s[18:19], -v[50:51]
	v_fma_f64 v[96:97], v[32:33], s[26:27], v[100:101]
	v_fma_f64 v[98:99], v[34:35], s[26:27], v[102:103]
	;; [unrolled: 1-line block ×4, first 2 shown]
	v_fma_f64 v[32:33], v[32:33], s[24:25], -v[104:105]
	v_fma_f64 v[34:35], v[34:35], s[24:25], -v[106:107]
	;; [unrolled: 1-line block ×4, first 2 shown]
	v_fma_f64 v[96:97], v[44:45], s[20:21], v[96:97]
	v_fma_f64 v[98:99], v[46:47], s[20:21], v[98:99]
	v_add_f64 v[52:53], v[52:53], v[36:37]
	v_add_f64 v[54:55], v[54:55], v[38:39]
	v_fma_f64 v[104:105], v[44:45], s[20:21], v[32:33]
	v_fma_f64 v[106:107], v[46:47], s[20:21], v[34:35]
	v_add_f64 v[48:49], v[48:49], v[36:37]
	v_add_f64 v[50:51], v[50:51], v[38:39]
	;; [unrolled: 4-line block ×3, first 2 shown]
	v_add_f64 v[32:33], v[98:99], v[52:53]
	v_add_f64 v[34:35], v[54:55], -v[96:97]
	v_add_f64 v[36:37], v[106:107], v[48:49]
	v_add_f64 v[38:39], v[50:51], -v[104:105]
	v_add_f64 v[48:49], v[48:49], -v[106:107]
	v_add_f64 v[50:51], v[104:105], v[50:51]
	v_add_f64 v[40:41], v[44:45], -v[102:103]
	v_add_f64 v[42:43], v[100:101], v[46:47]
	v_add_f64 v[44:45], v[102:103], v[44:45]
	v_add_f64 v[46:47], v[46:47], -v[100:101]
	v_add_f64 v[52:53], v[52:53], -v[98:99]
	v_add_f64 v[54:55], v[96:97], v[54:55]
	v_lshl_add_u32 v92, v116, 4, 0
	ds_write_b128 v92, v[28:31]
	ds_write_b128 v92, v[32:35] offset:128
	ds_write_b128 v92, v[36:39] offset:256
	;; [unrolled: 1-line block ×6, first 2 shown]
	s_and_saveexec_b64 s[28:29], vcc
	s_cbranch_execz .LBB0_25
; %bb.24:
	v_mul_f64 v[32:33], v[14:15], v[66:67]
	v_mul_f64 v[34:35], v[26:27], v[78:79]
	;; [unrolled: 1-line block ×8, first 2 shown]
	v_fma_f64 v[32:33], v[12:13], v[64:65], v[32:33]
	v_fma_f64 v[34:35], v[24:25], v[76:77], v[34:35]
	v_mul_f64 v[12:13], v[12:13], v[66:67]
	v_mul_f64 v[24:25], v[24:25], v[78:79]
	v_fma_f64 v[28:29], v[16:17], v[72:73], v[28:29]
	v_fma_f64 v[30:31], v[8:9], v[56:57], v[30:31]
	v_mul_f64 v[8:9], v[8:9], v[58:59]
	v_mul_f64 v[16:17], v[16:17], v[74:75]
	v_fma_f64 v[6:7], v[6:7], v[60:61], -v[40:41]
	v_fma_f64 v[22:23], v[22:23], v[68:69], -v[42:43]
	;; [unrolled: 1-line block ×4, first 2 shown]
	v_fma_f64 v[4:5], v[4:5], v[60:61], v[36:37]
	v_add_f64 v[36:37], v[28:29], -v[30:31]
	v_add_f64 v[44:45], v[32:33], -v[34:35]
	v_fma_f64 v[20:21], v[20:21], v[68:69], v[38:39]
	v_fma_f64 v[8:9], v[10:11], v[56:57], -v[8:9]
	v_fma_f64 v[10:11], v[18:19], v[72:73], -v[16:17]
	v_add_f64 v[38:39], v[6:7], v[22:23]
	v_add_f64 v[18:19], v[12:13], v[14:15]
	;; [unrolled: 1-line block ×4, first 2 shown]
	v_add_f64 v[26:27], v[36:37], -v[44:45]
	v_add_f64 v[24:25], v[4:5], -v[20:21]
	v_add_f64 v[4:5], v[4:5], v[20:21]
	v_add_f64 v[34:35], v[8:9], v[10:11]
	;; [unrolled: 1-line block ×4, first 2 shown]
	v_add_f64 v[8:9], v[10:11], -v[8:9]
	v_add_f64 v[10:11], v[12:13], -v[14:15]
	v_mul_f64 v[20:21], v[26:27], s[22:23]
	v_add_f64 v[26:27], v[24:25], -v[36:37]
	v_add_f64 v[36:37], v[32:33], v[4:5]
	v_add_f64 v[6:7], v[6:7], -v[22:23]
	v_add_f64 v[16:17], v[16:17], v[24:25]
	v_add_f64 v[14:15], v[34:35], v[30:31]
	v_add_f64 v[30:31], v[4:5], -v[28:29]
	v_add_f64 v[42:43], v[34:35], -v[18:19]
	;; [unrolled: 1-line block ×4, first 2 shown]
	v_add_f64 v[34:35], v[28:29], v[36:37]
	v_add_f64 v[24:25], v[44:45], -v[24:25]
	v_add_f64 v[22:23], v[28:29], -v[32:33]
	v_fma_f64 v[40:41], v[26:27], s[26:27], v[20:21]
	v_mul_f64 v[28:29], v[30:31], s[14:15]
	v_add_f64 v[30:31], v[8:9], v[10:11]
	v_add_f64 v[10:11], v[10:11], -v[6:7]
	v_mul_f64 v[12:13], v[12:13], s[14:15]
	v_add_f64 v[2:3], v[2:3], v[14:15]
	v_add_f64 v[0:1], v[0:1], v[34:35]
	v_mul_f64 v[46:47], v[46:47], s[22:23]
	v_add_f64 v[8:9], v[6:7], -v[8:9]
	v_mul_f64 v[48:49], v[24:25], s[4:5]
	v_add_f64 v[18:19], v[18:19], -v[38:39]
	v_add_f64 v[4:5], v[32:33], -v[4:5]
	v_mul_f64 v[32:33], v[10:11], s[4:5]
	v_fma_f64 v[36:37], v[16:17], s[20:21], v[40:41]
	v_mul_f64 v[40:41], v[42:43], s[6:7]
	v_fma_f64 v[44:45], v[22:23], s[6:7], v[28:29]
	;; [unrolled: 2-line block ×3, first 2 shown]
	v_fma_f64 v[14:15], v[14:15], s[16:17], v[2:3]
	v_fma_f64 v[34:35], v[34:35], s[16:17], v[0:1]
	v_add_f64 v[6:7], v[30:31], v[6:7]
	v_fma_f64 v[30:31], v[8:9], s[26:27], v[46:47]
	v_fma_f64 v[26:27], v[26:27], s[24:25], -v[48:49]
	v_fma_f64 v[12:13], v[18:19], s[18:19], -v[12:13]
	;; [unrolled: 1-line block ×8, first 2 shown]
	v_add_f64 v[38:39], v[42:43], v[14:15]
	v_add_f64 v[42:43], v[44:45], v[34:35]
	v_fma_f64 v[30:31], v[6:7], s[20:21], v[30:31]
	v_fma_f64 v[22:23], v[16:17], s[20:21], v[26:27]
	v_add_f64 v[24:25], v[12:13], v[14:15]
	v_add_f64 v[28:29], v[28:29], v[34:35]
	v_fma_f64 v[32:33], v[6:7], s[20:21], v[8:9]
	v_add_f64 v[18:19], v[18:19], v[14:15]
	v_fma_f64 v[16:17], v[16:17], s[20:21], v[20:21]
	v_fma_f64 v[40:41], v[6:7], s[20:21], v[10:11]
	v_add_f64 v[34:35], v[4:5], v[34:35]
	v_add_f64 v[26:27], v[38:39], -v[36:37]
	v_add_f64 v[10:11], v[22:23], v[24:25]
	v_add_f64 v[22:23], v[24:25], -v[22:23]
	v_add_f64 v[24:25], v[30:31], v[42:43]
	v_add_f64 v[20:21], v[32:33], v[28:29]
	v_add_f64 v[14:15], v[18:19], -v[16:17]
	v_add_f64 v[18:19], v[16:17], v[18:19]
	v_add_f64 v[16:17], v[34:35], -v[40:41]
	v_add_f64 v[8:9], v[28:29], -v[32:33]
	v_add_f64 v[12:13], v[40:41], v[34:35]
	v_lshrrev_b32_e32 v28, 3, v85
	v_mul_u32_u24_e32 v28, 56, v28
	v_add_f64 v[6:7], v[36:37], v[38:39]
	v_add_f64 v[4:5], v[42:43], -v[30:31]
	v_or_b32_e32 v28, v28, v91
	v_lshl_add_u32 v28, v28, 4, 0
	ds_write_b128 v28, v[0:3]
	ds_write_b128 v28, v[24:27] offset:128
	ds_write_b128 v28, v[20:23] offset:256
	;; [unrolled: 1-line block ×6, first 2 shown]
.LBB0_25:
	s_or_b64 exec, exec, s[28:29]
	v_lshlrev_b32_e32 v0, 2, v84
	v_mov_b32_e32 v1, 0
	v_lshlrev_b64 v[2:3], 4, v[0:1]
	v_mov_b32_e32 v0, s13
	v_add_co_u32_e32 v18, vcc, s12, v2
	v_addc_co_u32_e32 v19, vcc, v0, v3, vcc
	s_waitcnt lgkmcnt(0)
	; wave barrier
	s_waitcnt lgkmcnt(0)
	global_load_dwordx4 v[2:5], v[18:19], off offset:768
	global_load_dwordx4 v[6:9], v[18:19], off offset:784
	;; [unrolled: 1-line block ×4, first 2 shown]
	ds_read_b128 v[18:21], v90
	ds_read_b128 v[22:25], v90 offset:896
	ds_read_b128 v[26:29], v90 offset:1792
	ds_read_b128 v[30:33], v90 offset:2688
	ds_read_b128 v[34:37], v90 offset:3584
	ds_read_b128 v[38:41], v90 offset:4480
	ds_read_b128 v[42:45], v90 offset:5376
	ds_read_b128 v[46:49], v90 offset:6272
	ds_read_b128 v[50:53], v90 offset:7168
	ds_read_b128 v[54:57], v90 offset:8064
	s_mov_b32 s8, 0x134454ff
	s_mov_b32 s9, 0xbfee6f0e
	;; [unrolled: 1-line block ×10, first 2 shown]
	s_waitcnt lgkmcnt(0)
	; wave barrier
	s_waitcnt vmcnt(3) lgkmcnt(0)
	v_mul_f64 v[58:59], v[28:29], v[4:5]
	v_mul_f64 v[60:61], v[26:27], v[4:5]
	s_waitcnt vmcnt(2)
	v_mul_f64 v[62:63], v[36:37], v[8:9]
	v_mul_f64 v[64:65], v[34:35], v[8:9]
	s_waitcnt vmcnt(1)
	;; [unrolled: 3-line block ×3, first 2 shown]
	v_mul_f64 v[70:71], v[52:53], v[16:17]
	v_mul_f64 v[72:73], v[50:51], v[16:17]
	v_mul_f64 v[74:75], v[32:33], v[4:5]
	v_mul_f64 v[4:5], v[30:31], v[4:5]
	v_mul_f64 v[76:77], v[40:41], v[8:9]
	v_mul_f64 v[78:79], v[48:49], v[12:13]
	v_mul_f64 v[12:13], v[46:47], v[12:13]
	v_mul_f64 v[91:92], v[56:57], v[16:17]
	v_mul_f64 v[16:17], v[54:55], v[16:17]
	v_fma_f64 v[26:27], v[26:27], v[2:3], v[58:59]
	v_fma_f64 v[28:29], v[28:29], v[2:3], -v[60:61]
	v_fma_f64 v[34:35], v[34:35], v[6:7], v[62:63]
	v_fma_f64 v[36:37], v[36:37], v[6:7], -v[64:65]
	;; [unrolled: 2-line block ×4, first 2 shown]
	v_mul_f64 v[8:9], v[38:39], v[8:9]
	v_fma_f64 v[30:31], v[30:31], v[2:3], v[74:75]
	v_fma_f64 v[32:33], v[32:33], v[2:3], -v[4:5]
	v_fma_f64 v[38:39], v[38:39], v[6:7], v[76:77]
	v_fma_f64 v[46:47], v[46:47], v[10:11], v[78:79]
	v_fma_f64 v[48:49], v[48:49], v[10:11], -v[12:13]
	v_fma_f64 v[54:55], v[54:55], v[14:15], v[91:92]
	v_fma_f64 v[56:57], v[56:57], v[14:15], -v[16:17]
	v_add_f64 v[2:3], v[18:19], v[26:27]
	v_add_f64 v[4:5], v[34:35], v[42:43]
	v_add_f64 v[10:11], v[26:27], -v[34:35]
	v_add_f64 v[12:13], v[50:51], -v[42:43]
	v_add_f64 v[14:15], v[26:27], v[50:51]
	v_add_f64 v[60:61], v[20:21], v[28:29]
	;; [unrolled: 1-line block ×4, first 2 shown]
	v_fma_f64 v[40:41], v[40:41], v[6:7], -v[8:9]
	v_add_f64 v[6:7], v[28:29], -v[52:53]
	v_add_f64 v[8:9], v[36:37], -v[44:45]
	;; [unrolled: 1-line block ×7, first 2 shown]
	v_add_f64 v[76:77], v[38:39], v[46:47]
	v_add_f64 v[97:98], v[30:31], v[54:55]
	;; [unrolled: 1-line block ×3, first 2 shown]
	v_fma_f64 v[4:5], v[4:5], -0.5, v[18:19]
	v_add_f64 v[10:11], v[10:11], v[12:13]
	v_fma_f64 v[12:13], v[14:15], -0.5, v[18:19]
	v_add_f64 v[14:15], v[60:61], v[36:37]
	v_fma_f64 v[18:19], v[62:63], -0.5, v[20:21]
	v_fma_f64 v[20:21], v[70:71], -0.5, v[20:21]
	v_add_f64 v[26:27], v[26:27], -v[50:51]
	v_add_f64 v[28:29], v[36:37], -v[28:29]
	;; [unrolled: 1-line block ×3, first 2 shown]
	v_add_f64 v[74:75], v[22:23], v[30:31]
	v_add_f64 v[16:17], v[16:17], v[58:59]
	;; [unrolled: 1-line block ×3, first 2 shown]
	v_fma_f64 v[58:59], v[76:77], -0.5, v[22:23]
	v_fma_f64 v[62:63], v[97:98], -0.5, v[22:23]
	v_add_f64 v[2:3], v[2:3], v[42:43]
	v_fma_f64 v[22:23], v[6:7], s[8:9], v[4:5]
	v_fma_f64 v[4:5], v[6:7], s[16:17], v[4:5]
	;; [unrolled: 1-line block ×4, first 2 shown]
	v_add_f64 v[14:15], v[14:15], v[44:45]
	v_fma_f64 v[66:67], v[64:65], s[8:9], v[20:21]
	v_fma_f64 v[20:21], v[64:65], s[16:17], v[20:21]
	;; [unrolled: 1-line block ×3, first 2 shown]
	v_add_f64 v[28:29], v[28:29], v[72:73]
	v_fma_f64 v[18:19], v[26:27], s[8:9], v[18:19]
	v_fma_f64 v[22:23], v[8:9], s[4:5], v[22:23]
	;; [unrolled: 1-line block ×5, first 2 shown]
	v_add_f64 v[4:5], v[14:15], v[52:53]
	v_fma_f64 v[52:53], v[26:27], s[14:15], v[66:67]
	v_fma_f64 v[20:21], v[26:27], s[4:5], v[20:21]
	;; [unrolled: 1-line block ×3, first 2 shown]
	v_add_f64 v[36:37], v[74:75], v[38:39]
	v_add_f64 v[2:3], v[2:3], v[50:51]
	v_fma_f64 v[50:51], v[64:65], s[4:5], v[18:19]
	v_fma_f64 v[14:15], v[16:17], s[6:7], v[42:43]
	;; [unrolled: 1-line block ×5, first 2 shown]
	v_add_f64 v[28:29], v[40:41], v[48:49]
	v_fma_f64 v[6:7], v[10:11], s[6:7], v[22:23]
	v_fma_f64 v[10:11], v[10:11], s[6:7], v[8:9]
	v_fma_f64 v[8:9], v[34:35], s[6:7], v[44:45]
	v_add_f64 v[44:45], v[32:33], v[56:57]
	v_add_f64 v[52:53], v[24:25], v[32:33]
	v_add_f64 v[78:79], v[32:33], -v[56:57]
	v_add_f64 v[93:94], v[30:31], -v[38:39]
	v_add_f64 v[36:37], v[36:37], v[46:47]
	v_fma_f64 v[12:13], v[34:35], s[6:7], v[50:51]
	v_add_f64 v[42:43], v[38:39], -v[30:31]
	v_add_f64 v[50:51], v[46:47], -v[54:55]
	v_fma_f64 v[28:29], v[28:29], -0.5, v[24:25]
	v_add_f64 v[30:31], v[30:31], -v[54:55]
	v_add_f64 v[91:92], v[40:41], -v[48:49]
	;; [unrolled: 1-line block ×3, first 2 shown]
	v_fma_f64 v[24:25], v[44:45], -0.5, v[24:25]
	v_add_f64 v[95:96], v[54:55], -v[46:47]
	v_add_f64 v[46:47], v[52:53], v[40:41]
	v_fma_f64 v[68:69], v[78:79], s[8:9], v[58:59]
	v_add_f64 v[22:23], v[36:37], v[54:55]
	v_add_f64 v[42:43], v[42:43], v[50:51]
	v_fma_f64 v[50:51], v[30:31], s[16:17], v[28:29]
	v_add_f64 v[52:53], v[32:33], -v[40:41]
	v_add_f64 v[54:55], v[56:57], -v[48:49]
	v_fma_f64 v[34:35], v[78:79], s[16:17], v[58:59]
	v_fma_f64 v[36:37], v[91:92], s[16:17], v[62:63]
	;; [unrolled: 1-line block ×3, first 2 shown]
	v_add_f64 v[32:33], v[40:41], -v[32:33]
	v_add_f64 v[40:41], v[48:49], -v[56:57]
	v_fma_f64 v[44:45], v[91:92], s[8:9], v[62:63]
	v_fma_f64 v[28:29], v[30:31], s[8:9], v[28:29]
	;; [unrolled: 1-line block ×3, first 2 shown]
	v_add_f64 v[46:47], v[46:47], v[48:49]
	v_add_f64 v[60:61], v[93:94], v[95:96]
	v_fma_f64 v[26:27], v[91:92], s[4:5], v[68:69]
	v_fma_f64 v[48:49], v[38:39], s[14:15], v[50:51]
	v_add_f64 v[50:51], v[52:53], v[54:55]
	v_fma_f64 v[34:35], v[91:92], s[14:15], v[34:35]
	v_fma_f64 v[36:37], v[78:79], s[4:5], v[36:37]
	v_fma_f64 v[54:55], v[30:31], s[14:15], v[58:59]
	v_add_f64 v[40:41], v[32:33], v[40:41]
	v_fma_f64 v[44:45], v[78:79], s[14:15], v[44:45]
	;; [unrolled: 4-line block ×3, first 2 shown]
	v_fma_f64 v[28:29], v[50:51], s[6:7], v[48:49]
	v_fma_f64 v[30:31], v[60:61], s[6:7], v[34:35]
	;; [unrolled: 1-line block ×7, first 2 shown]
	ds_write_b128 v90, v[2:5]
	ds_write_b128 v90, v[6:9] offset:896
	ds_write_b128 v90, v[14:17] offset:1792
	;; [unrolled: 1-line block ×9, first 2 shown]
	v_add_co_u32_e32 v2, vcc, s12, v86
	v_addc_co_u32_e32 v3, vcc, v0, v87, vcc
	s_movk_i32 s4, 0x1000
	v_add_co_u32_e32 v2, vcc, s4, v2
	v_addc_co_u32_e32 v3, vcc, 0, v3, vcc
	v_add_co_u32_e32 v6, vcc, s12, v88
	s_waitcnt lgkmcnt(0)
	; wave barrier
	s_waitcnt lgkmcnt(0)
	global_load_dwordx4 v[2:5], v[2:3], off offset:256
	v_addc_co_u32_e32 v0, vcc, v0, v89, vcc
	v_add_co_u32_e32 v22, vcc, s4, v6
	v_addc_co_u32_e32 v23, vcc, 0, v0, vcc
	global_load_dwordx4 v[6:9], v[22:23], off offset:1152
	global_load_dwordx4 v[10:13], v[22:23], off offset:2048
	;; [unrolled: 1-line block ×4, first 2 shown]
	ds_read_b128 v[22:25], v90 offset:4480
	ds_read_b128 v[26:29], v90
	ds_read_b128 v[30:33], v90 offset:896
	ds_read_b128 v[34:37], v90 offset:5376
	;; [unrolled: 1-line block ×8, first 2 shown]
	s_waitcnt lgkmcnt(0)
	; wave barrier
	s_waitcnt vmcnt(4) lgkmcnt(0)
	v_mul_f64 v[62:63], v[24:25], v[4:5]
	v_mul_f64 v[4:5], v[22:23], v[4:5]
	s_waitcnt vmcnt(3)
	v_mul_f64 v[64:65], v[36:37], v[8:9]
	v_mul_f64 v[8:9], v[34:35], v[8:9]
	v_fma_f64 v[22:23], v[22:23], v[2:3], v[62:63]
	v_fma_f64 v[4:5], v[24:25], v[2:3], -v[4:5]
	v_fma_f64 v[24:25], v[34:35], v[6:7], v[64:65]
	v_fma_f64 v[34:35], v[36:37], v[6:7], -v[8:9]
	s_waitcnt vmcnt(2)
	v_mul_f64 v[6:7], v[40:41], v[12:13]
	v_mul_f64 v[8:9], v[38:39], v[12:13]
	s_waitcnt vmcnt(1)
	v_mul_f64 v[12:13], v[56:57], v[16:17]
	v_mul_f64 v[16:17], v[54:55], v[16:17]
	;; [unrolled: 3-line block ×3, first 2 shown]
	v_add_f64 v[2:3], v[26:27], -v[22:23]
	v_add_f64 v[4:5], v[28:29], -v[4:5]
	v_fma_f64 v[22:23], v[38:39], v[10:11], v[6:7]
	v_fma_f64 v[38:39], v[40:41], v[10:11], -v[8:9]
	v_fma_f64 v[40:41], v[54:55], v[14:15], v[12:13]
	v_fma_f64 v[54:55], v[56:57], v[14:15], -v[16:17]
	;; [unrolled: 2-line block ×3, first 2 shown]
	v_add_f64 v[10:11], v[30:31], -v[24:25]
	v_add_f64 v[12:13], v[32:33], -v[34:35]
	;; [unrolled: 1-line block ×6, first 2 shown]
	v_fma_f64 v[6:7], v[26:27], 2.0, -v[2:3]
	v_fma_f64 v[8:9], v[28:29], 2.0, -v[4:5]
	v_add_f64 v[22:23], v[42:43], -v[36:37]
	v_add_f64 v[24:25], v[44:45], -v[56:57]
	v_fma_f64 v[26:27], v[30:31], 2.0, -v[10:11]
	v_fma_f64 v[28:29], v[32:33], 2.0, -v[12:13]
	;; [unrolled: 1-line block ×8, first 2 shown]
	ds_write_b128 v90, v[6:9]
	ds_write_b128 v90, v[2:5] offset:4480
	ds_write_b128 v90, v[26:29] offset:896
	;; [unrolled: 1-line block ×9, first 2 shown]
	s_waitcnt lgkmcnt(0)
	; wave barrier
	s_waitcnt lgkmcnt(0)
	s_and_saveexec_b64 s[4:5], s[0:1]
	s_cbranch_execz .LBB0_27
; %bb.26:
	v_mul_lo_u32 v0, s3, v82
	v_mul_lo_u32 v2, s2, v83
	v_mad_u64_u32 v[6:7], s[0:1], s2, v82, 0
	v_lshl_add_u32 v12, v84, 4, 0
	v_mov_b32_e32 v85, v1
	v_add3_u32 v7, v7, v2, v0
	v_lshlrev_b64 v[6:7], 4, v[6:7]
	v_mov_b32_e32 v0, s11
	v_add_co_u32_e32 v8, vcc, s10, v6
	v_addc_co_u32_e32 v0, vcc, v0, v7, vcc
	v_lshlrev_b64 v[6:7], 4, v[80:81]
	ds_read_b128 v[2:5], v12
	v_add_co_u32_e32 v13, vcc, v8, v6
	v_addc_co_u32_e32 v14, vcc, v0, v7, vcc
	v_lshlrev_b64 v[6:7], 4, v[84:85]
	v_add_u32_e32 v0, 56, v84
	v_add_co_u32_e32 v10, vcc, v13, v6
	v_addc_co_u32_e32 v11, vcc, v14, v7, vcc
	ds_read_b128 v[6:9], v12 offset:896
	s_waitcnt lgkmcnt(1)
	global_store_dwordx4 v[10:11], v[2:5], off
	s_nop 0
	v_lshlrev_b64 v[2:3], 4, v[0:1]
	v_add_u32_e32 v0, 0x70, v84
	v_add_co_u32_e32 v2, vcc, v13, v2
	v_addc_co_u32_e32 v3, vcc, v14, v3, vcc
	s_waitcnt lgkmcnt(0)
	global_store_dwordx4 v[2:3], v[6:9], off
	ds_read_b128 v[2:5], v12 offset:1792
	v_lshlrev_b64 v[6:7], 4, v[0:1]
	v_add_u32_e32 v0, 0xa8, v84
	v_add_co_u32_e32 v10, vcc, v13, v6
	v_addc_co_u32_e32 v11, vcc, v14, v7, vcc
	ds_read_b128 v[6:9], v12 offset:2688
	s_waitcnt lgkmcnt(1)
	global_store_dwordx4 v[10:11], v[2:5], off
	s_nop 0
	v_lshlrev_b64 v[2:3], 4, v[0:1]
	v_add_u32_e32 v0, 0xe0, v84
	v_add_co_u32_e32 v2, vcc, v13, v2
	v_addc_co_u32_e32 v3, vcc, v14, v3, vcc
	s_waitcnt lgkmcnt(0)
	global_store_dwordx4 v[2:3], v[6:9], off
	ds_read_b128 v[2:5], v12 offset:3584
	;; [unrolled: 15-line block ×4, first 2 shown]
	v_lshlrev_b64 v[6:7], 4, v[0:1]
	v_add_u32_e32 v0, 0x1f8, v84
	v_add_co_u32_e32 v10, vcc, v13, v6
	v_addc_co_u32_e32 v11, vcc, v14, v7, vcc
	ds_read_b128 v[6:9], v12 offset:8064
	v_lshlrev_b64 v[0:1], 4, v[0:1]
	s_waitcnt lgkmcnt(1)
	global_store_dwordx4 v[10:11], v[2:5], off
	v_add_co_u32_e32 v0, vcc, v13, v0
	v_addc_co_u32_e32 v1, vcc, v14, v1, vcc
	s_waitcnt lgkmcnt(0)
	global_store_dwordx4 v[0:1], v[6:9], off
.LBB0_27:
	s_endpgm
	.section	.rodata,"a",@progbits
	.p2align	6, 0x0
	.amdhsa_kernel fft_rtc_back_len560_factors_8_7_5_2_wgs_56_tpt_56_dp_op_CI_CI_unitstride_sbrr_C2R_dirReg
		.amdhsa_group_segment_fixed_size 0
		.amdhsa_private_segment_fixed_size 0
		.amdhsa_kernarg_size 104
		.amdhsa_user_sgpr_count 6
		.amdhsa_user_sgpr_private_segment_buffer 1
		.amdhsa_user_sgpr_dispatch_ptr 0
		.amdhsa_user_sgpr_queue_ptr 0
		.amdhsa_user_sgpr_kernarg_segment_ptr 1
		.amdhsa_user_sgpr_dispatch_id 0
		.amdhsa_user_sgpr_flat_scratch_init 0
		.amdhsa_user_sgpr_private_segment_size 0
		.amdhsa_uses_dynamic_stack 0
		.amdhsa_system_sgpr_private_segment_wavefront_offset 0
		.amdhsa_system_sgpr_workgroup_id_x 1
		.amdhsa_system_sgpr_workgroup_id_y 0
		.amdhsa_system_sgpr_workgroup_id_z 0
		.amdhsa_system_sgpr_workgroup_info 0
		.amdhsa_system_vgpr_workitem_id 0
		.amdhsa_next_free_vgpr 117
		.amdhsa_next_free_sgpr 30
		.amdhsa_reserve_vcc 1
		.amdhsa_reserve_flat_scratch 0
		.amdhsa_float_round_mode_32 0
		.amdhsa_float_round_mode_16_64 0
		.amdhsa_float_denorm_mode_32 3
		.amdhsa_float_denorm_mode_16_64 3
		.amdhsa_dx10_clamp 1
		.amdhsa_ieee_mode 1
		.amdhsa_fp16_overflow 0
		.amdhsa_exception_fp_ieee_invalid_op 0
		.amdhsa_exception_fp_denorm_src 0
		.amdhsa_exception_fp_ieee_div_zero 0
		.amdhsa_exception_fp_ieee_overflow 0
		.amdhsa_exception_fp_ieee_underflow 0
		.amdhsa_exception_fp_ieee_inexact 0
		.amdhsa_exception_int_div_zero 0
	.end_amdhsa_kernel
	.text
.Lfunc_end0:
	.size	fft_rtc_back_len560_factors_8_7_5_2_wgs_56_tpt_56_dp_op_CI_CI_unitstride_sbrr_C2R_dirReg, .Lfunc_end0-fft_rtc_back_len560_factors_8_7_5_2_wgs_56_tpt_56_dp_op_CI_CI_unitstride_sbrr_C2R_dirReg
                                        ; -- End function
	.section	.AMDGPU.csdata,"",@progbits
; Kernel info:
; codeLenInByte = 8508
; NumSgprs: 34
; NumVgprs: 117
; ScratchSize: 0
; MemoryBound: 0
; FloatMode: 240
; IeeeMode: 1
; LDSByteSize: 0 bytes/workgroup (compile time only)
; SGPRBlocks: 4
; VGPRBlocks: 29
; NumSGPRsForWavesPerEU: 34
; NumVGPRsForWavesPerEU: 117
; Occupancy: 2
; WaveLimiterHint : 1
; COMPUTE_PGM_RSRC2:SCRATCH_EN: 0
; COMPUTE_PGM_RSRC2:USER_SGPR: 6
; COMPUTE_PGM_RSRC2:TRAP_HANDLER: 0
; COMPUTE_PGM_RSRC2:TGID_X_EN: 1
; COMPUTE_PGM_RSRC2:TGID_Y_EN: 0
; COMPUTE_PGM_RSRC2:TGID_Z_EN: 0
; COMPUTE_PGM_RSRC2:TIDIG_COMP_CNT: 0
	.type	__hip_cuid_2f82fbc971e608dc,@object ; @__hip_cuid_2f82fbc971e608dc
	.section	.bss,"aw",@nobits
	.globl	__hip_cuid_2f82fbc971e608dc
__hip_cuid_2f82fbc971e608dc:
	.byte	0                               ; 0x0
	.size	__hip_cuid_2f82fbc971e608dc, 1

	.ident	"AMD clang version 19.0.0git (https://github.com/RadeonOpenCompute/llvm-project roc-6.4.0 25133 c7fe45cf4b819c5991fe208aaa96edf142730f1d)"
	.section	".note.GNU-stack","",@progbits
	.addrsig
	.addrsig_sym __hip_cuid_2f82fbc971e608dc
	.amdgpu_metadata
---
amdhsa.kernels:
  - .args:
      - .actual_access:  read_only
        .address_space:  global
        .offset:         0
        .size:           8
        .value_kind:     global_buffer
      - .offset:         8
        .size:           8
        .value_kind:     by_value
      - .actual_access:  read_only
        .address_space:  global
        .offset:         16
        .size:           8
        .value_kind:     global_buffer
      - .actual_access:  read_only
        .address_space:  global
        .offset:         24
        .size:           8
        .value_kind:     global_buffer
      - .actual_access:  read_only
        .address_space:  global
        .offset:         32
        .size:           8
        .value_kind:     global_buffer
      - .offset:         40
        .size:           8
        .value_kind:     by_value
      - .actual_access:  read_only
        .address_space:  global
        .offset:         48
        .size:           8
        .value_kind:     global_buffer
      - .actual_access:  read_only
        .address_space:  global
        .offset:         56
        .size:           8
        .value_kind:     global_buffer
      - .offset:         64
        .size:           4
        .value_kind:     by_value
      - .actual_access:  read_only
        .address_space:  global
        .offset:         72
        .size:           8
        .value_kind:     global_buffer
      - .actual_access:  read_only
        .address_space:  global
        .offset:         80
        .size:           8
        .value_kind:     global_buffer
      - .actual_access:  read_only
        .address_space:  global
        .offset:         88
        .size:           8
        .value_kind:     global_buffer
      - .actual_access:  write_only
        .address_space:  global
        .offset:         96
        .size:           8
        .value_kind:     global_buffer
    .group_segment_fixed_size: 0
    .kernarg_segment_align: 8
    .kernarg_segment_size: 104
    .language:       OpenCL C
    .language_version:
      - 2
      - 0
    .max_flat_workgroup_size: 56
    .name:           fft_rtc_back_len560_factors_8_7_5_2_wgs_56_tpt_56_dp_op_CI_CI_unitstride_sbrr_C2R_dirReg
    .private_segment_fixed_size: 0
    .sgpr_count:     34
    .sgpr_spill_count: 0
    .symbol:         fft_rtc_back_len560_factors_8_7_5_2_wgs_56_tpt_56_dp_op_CI_CI_unitstride_sbrr_C2R_dirReg.kd
    .uniform_work_group_size: 1
    .uses_dynamic_stack: false
    .vgpr_count:     117
    .vgpr_spill_count: 0
    .wavefront_size: 64
amdhsa.target:   amdgcn-amd-amdhsa--gfx906
amdhsa.version:
  - 1
  - 2
...

	.end_amdgpu_metadata
